;; amdgpu-corpus repo=ROCm/rocFFT kind=compiled arch=gfx950 opt=O3
	.text
	.amdgcn_target "amdgcn-amd-amdhsa--gfx950"
	.amdhsa_code_object_version 6
	.protected	bluestein_single_back_len210_dim1_dp_op_CI_CI ; -- Begin function bluestein_single_back_len210_dim1_dp_op_CI_CI
	.globl	bluestein_single_back_len210_dim1_dp_op_CI_CI
	.p2align	8
	.type	bluestein_single_back_len210_dim1_dp_op_CI_CI,@function
bluestein_single_back_len210_dim1_dp_op_CI_CI: ; @bluestein_single_back_len210_dim1_dp_op_CI_CI
; %bb.0:
	s_load_dwordx4 s[8:11], s[0:1], 0x28
	v_mul_u32_u24_e32 v1, 0x889, v0
	v_lshrrev_b32_e32 v1, 16, v1
	v_mov_b32_e32 v97, 0
	v_lshl_add_u32 v98, s2, 1, v1
	v_mov_b32_e32 v99, v97
	s_waitcnt lgkmcnt(0)
	v_cmp_gt_u64_e32 vcc, s[8:9], v[98:99]
	s_and_saveexec_b64 s[2:3], vcc
	s_cbranch_execz .LBB0_23
; %bb.1:
	s_load_dwordx2 s[2:3], s[0:1], 0x0
	s_load_dwordx2 s[8:9], s[0:1], 0x38
	v_mul_lo_u16_e32 v2, 30, v1
	v_sub_u16_e32 v96, v0, v2
	v_and_b32_e32 v0, 1, v1
	v_mov_b32_e32 v1, 0xd2
	v_cmp_eq_u32_e32 vcc, 1, v0
	v_lshlrev_b32_e32 v99, 4, v96
	s_nop 0
	v_cndmask_b32_e32 v132, 0, v1, vcc
	v_cmp_gt_u16_e32 vcc, 21, v96
	v_lshlrev_b32_e32 v133, 4, v132
	s_and_saveexec_b64 s[12:13], vcc
	s_cbranch_execz .LBB0_3
; %bb.2:
	s_load_dwordx2 s[4:5], s[0:1], 0x18
	v_mov_b32_e32 v0, s10
	v_mov_b32_e32 v1, s11
	;; [unrolled: 1-line block ×3, first 2 shown]
	v_lshl_add_u32 v84, v96, 4, v133
	s_waitcnt lgkmcnt(0)
	s_load_dwordx4 s[4:7], s[4:5], 0x0
	v_add_u32_e32 v85, v133, v99
	s_waitcnt lgkmcnt(0)
	v_mad_u64_u32 v[2:3], s[10:11], s6, v98, 0
	v_mad_u64_u32 v[4:5], s[10:11], s4, v96, 0
	v_mov_b32_e32 v6, v3
	v_mov_b32_e32 v8, v5
	v_mad_u64_u32 v[6:7], s[6:7], s7, v98, v[6:7]
	v_mov_b32_e32 v3, v6
	v_mad_u64_u32 v[6:7], s[6:7], s5, v96, v[8:9]
	v_mov_b32_e32 v5, v6
	v_lshl_add_u64 v[0:1], v[2:3], 4, v[0:1]
	v_lshl_add_u64 v[12:13], v[4:5], 4, v[0:1]
	s_mulk_i32 s5, 0x150
	v_mad_u64_u32 v[16:17], s[6:7], s4, v78, v[12:13]
	global_load_dwordx4 v[0:3], v[12:13], off
	v_add_u32_e32 v17, s5, v17
	global_load_dwordx4 v[4:7], v99, s[2:3]
	global_load_dwordx4 v[8:11], v99, s[2:3] offset:336
	global_load_dwordx4 v[12:15], v[16:17], off
	v_mad_u64_u32 v[28:29], s[6:7], s4, v78, v[16:17]
	v_add_u32_e32 v29, s5, v29
	v_mad_u64_u32 v[32:33], s[6:7], s4, v78, v[28:29]
	global_load_dwordx4 v[16:19], v[28:29], off
	global_load_dwordx4 v[20:23], v99, s[2:3] offset:672
	global_load_dwordx4 v[24:27], v99, s[2:3] offset:1008
	v_add_u32_e32 v33, s5, v33
	global_load_dwordx4 v[28:31], v[32:33], off
	v_mad_u64_u32 v[44:45], s[6:7], s4, v78, v[32:33]
	v_add_u32_e32 v45, s5, v45
	v_mad_u64_u32 v[48:49], s[6:7], s4, v78, v[44:45]
	global_load_dwordx4 v[32:35], v[44:45], off
	global_load_dwordx4 v[36:39], v99, s[2:3] offset:1344
	global_load_dwordx4 v[40:43], v99, s[2:3] offset:1680
	v_add_u32_e32 v49, s5, v49
	global_load_dwordx4 v[44:47], v[48:49], off
	v_mad_u64_u32 v[60:61], s[6:7], s4, v78, v[48:49]
	v_add_u32_e32 v61, s5, v61
	v_mad_u64_u32 v[64:65], s[6:7], s4, v78, v[60:61]
	global_load_dwordx4 v[48:51], v[60:61], off
	global_load_dwordx4 v[52:55], v99, s[2:3] offset:2016
	global_load_dwordx4 v[56:59], v99, s[2:3] offset:2352
	v_add_u32_e32 v65, s5, v65
	global_load_dwordx4 v[60:63], v[64:65], off
	v_mad_u64_u32 v[76:77], s[6:7], s4, v78, v[64:65]
	v_add_u32_e32 v77, s5, v77
	global_load_dwordx4 v[64:67], v[76:77], off
	global_load_dwordx4 v[68:71], v99, s[2:3] offset:2688
	global_load_dwordx4 v[72:75], v99, s[2:3] offset:3024
	v_mad_u64_u32 v[76:77], s[6:7], s4, v78, v[76:77]
	v_add_u32_e32 v77, s5, v77
	global_load_dwordx4 v[76:79], v[76:77], off
	s_waitcnt vmcnt(18)
	v_mul_f64 v[80:81], v[2:3], v[6:7]
	v_mul_f64 v[6:7], v[0:1], v[6:7]
	v_fmac_f64_e32 v[80:81], v[0:1], v[4:5]
	v_fma_f64 v[82:83], v[2:3], v[4:5], -v[6:7]
	s_waitcnt vmcnt(16)
	v_mul_f64 v[0:1], v[14:15], v[10:11]
	v_mul_f64 v[2:3], v[12:13], v[10:11]
	v_fmac_f64_e32 v[0:1], v[12:13], v[8:9]
	v_fma_f64 v[2:3], v[14:15], v[8:9], -v[2:3]
	ds_write_b128 v84, v[80:83]
	ds_write_b128 v85, v[0:3] offset:336
	s_waitcnt vmcnt(14)
	v_mul_f64 v[2:3], v[16:17], v[22:23]
	v_mul_f64 v[0:1], v[18:19], v[22:23]
	v_fma_f64 v[2:3], v[18:19], v[20:21], -v[2:3]
	v_fmac_f64_e32 v[0:1], v[16:17], v[20:21]
	ds_write_b128 v85, v[0:3] offset:672
	s_waitcnt vmcnt(12)
	v_mul_f64 v[0:1], v[30:31], v[26:27]
	v_mul_f64 v[2:3], v[28:29], v[26:27]
	v_fmac_f64_e32 v[0:1], v[28:29], v[24:25]
	v_fma_f64 v[2:3], v[30:31], v[24:25], -v[2:3]
	ds_write_b128 v85, v[0:3] offset:1008
	s_waitcnt vmcnt(10)
	v_mul_f64 v[0:1], v[34:35], v[38:39]
	v_mul_f64 v[2:3], v[32:33], v[38:39]
	v_fmac_f64_e32 v[0:1], v[32:33], v[36:37]
	v_fma_f64 v[2:3], v[34:35], v[36:37], -v[2:3]
	;; [unrolled: 6-line block ×7, first 2 shown]
	ds_write_b128 v85, v[0:3] offset:3024
.LBB0_3:
	s_or_b64 exec, exec, s[12:13]
	s_load_dwordx2 s[4:5], s[0:1], 0x20
	s_load_dwordx2 s[10:11], s[0:1], 0x8
	s_waitcnt lgkmcnt(0)
	; wave barrier
	s_waitcnt lgkmcnt(0)
                                        ; implicit-def: $vgpr0_vgpr1
                                        ; implicit-def: $vgpr4_vgpr5
                                        ; implicit-def: $vgpr8_vgpr9
                                        ; implicit-def: $vgpr12_vgpr13
                                        ; implicit-def: $vgpr20_vgpr21
                                        ; implicit-def: $vgpr24_vgpr25
                                        ; implicit-def: $vgpr28_vgpr29
                                        ; implicit-def: $vgpr32_vgpr33
                                        ; implicit-def: $vgpr36_vgpr37
                                        ; implicit-def: $vgpr40_vgpr41
	s_and_saveexec_b64 s[0:1], vcc
	s_cbranch_execz .LBB0_5
; %bb.4:
	v_lshlrev_b32_e32 v0, 4, v96
	v_lshl_add_u32 v16, v132, 4, v0
	ds_read_b128 v[0:3], v16
	ds_read_b128 v[4:7], v16 offset:336
	ds_read_b128 v[8:11], v16 offset:672
	;; [unrolled: 1-line block ×9, first 2 shown]
.LBB0_5:
	s_or_b64 exec, exec, s[0:1]
	s_waitcnt lgkmcnt(0)
	v_add_f64 v[16:17], v[8:9], -v[20:21]
	v_add_f64 v[18:19], v[36:37], -v[28:29]
	s_mov_b32 s6, 0x134454ff
	v_add_f64 v[56:57], v[16:17], v[18:19]
	v_add_f64 v[16:17], v[8:9], v[36:37]
	s_mov_b32 s7, 0x3fee6f0e
	v_add_f64 v[54:55], v[22:23], -v[30:31]
	s_mov_b32 s0, 0x4755a5e
	s_mov_b32 s15, 0xbfee6f0e
	;; [unrolled: 1-line block ×3, first 2 shown]
	v_fma_f64 v[46:47], -0.5, v[16:17], v[0:1]
	v_add_f64 v[50:51], v[10:11], -v[38:39]
	s_mov_b32 s1, 0x3fe2cf23
	s_mov_b32 s12, 0x372fe950
	;; [unrolled: 1-line block ×4, first 2 shown]
	v_fma_f64 v[44:45], s[14:15], v[54:55], v[46:47]
	v_add_f64 v[16:17], v[20:21], -v[8:9]
	v_add_f64 v[18:19], v[28:29], -v[36:37]
	v_fmac_f64_e32 v[46:47], s[6:7], v[54:55]
	s_mov_b32 s13, 0x3fd3c6ef
	v_fmac_f64_e32 v[44:45], s[0:1], v[50:51]
	v_add_f64 v[16:17], v[16:17], v[18:19]
	v_fmac_f64_e32 v[46:47], s[16:17], v[50:51]
	v_fmac_f64_e32 v[44:45], s[12:13], v[16:17]
	;; [unrolled: 1-line block ×3, first 2 shown]
	v_add_f64 v[16:17], v[10:11], -v[22:23]
	v_add_f64 v[18:19], v[38:39], -v[30:31]
	v_add_f64 v[62:63], v[16:17], v[18:19]
	v_add_f64 v[16:17], v[10:11], v[38:39]
	v_add_f64 v[60:61], v[20:21], -v[28:29]
	v_fma_f64 v[52:53], -0.5, v[16:17], v[2:3]
	v_add_f64 v[58:59], v[8:9], -v[36:37]
	v_fma_f64 v[48:49], s[6:7], v[60:61], v[52:53]
	v_add_f64 v[16:17], v[22:23], -v[10:11]
	v_add_f64 v[18:19], v[30:31], -v[38:39]
	v_fmac_f64_e32 v[52:53], s[14:15], v[60:61]
	v_fmac_f64_e32 v[48:49], s[16:17], v[58:59]
	v_add_f64 v[16:17], v[16:17], v[18:19]
	v_fmac_f64_e32 v[52:53], s[0:1], v[58:59]
	v_fmac_f64_e32 v[48:49], s[12:13], v[16:17]
	;; [unrolled: 1-line block ×3, first 2 shown]
	v_add_f64 v[16:17], v[12:13], -v[24:25]
	v_add_f64 v[18:19], v[40:41], -v[32:33]
	v_add_f64 v[78:79], v[16:17], v[18:19]
	v_add_f64 v[16:17], v[12:13], v[40:41]
	v_add_f64 v[76:77], v[26:27], -v[34:35]
	v_fma_f64 v[16:17], -0.5, v[16:17], v[4:5]
	v_add_f64 v[66:67], v[14:15], -v[42:43]
	v_fma_f64 v[18:19], s[14:15], v[76:77], v[16:17]
	v_add_f64 v[64:65], v[24:25], -v[12:13]
	v_add_f64 v[68:69], v[32:33], -v[40:41]
	v_fmac_f64_e32 v[16:17], s[6:7], v[76:77]
	v_fmac_f64_e32 v[18:19], s[0:1], v[66:67]
	v_add_f64 v[64:65], v[64:65], v[68:69]
	v_fmac_f64_e32 v[16:17], s[16:17], v[66:67]
	v_fmac_f64_e32 v[18:19], s[12:13], v[64:65]
	;; [unrolled: 1-line block ×3, first 2 shown]
	v_add_f64 v[64:65], v[14:15], -v[26:27]
	v_add_f64 v[68:69], v[42:43], -v[34:35]
	v_add_f64 v[88:89], v[64:65], v[68:69]
	v_add_f64 v[64:65], v[26:27], -v[14:15]
	v_add_f64 v[68:69], v[34:35], -v[42:43]
	v_add_f64 v[64:65], v[64:65], v[68:69]
	v_add_f64 v[68:69], v[14:15], v[42:43]
	v_fma_f64 v[68:69], -0.5, v[68:69], v[6:7]
	v_add_f64 v[100:101], v[24:25], -v[32:33]
	v_add_f64 v[94:95], v[12:13], -v[40:41]
	v_fma_f64 v[70:71], s[6:7], v[100:101], v[68:69]
	v_fmac_f64_e32 v[70:71], s[16:17], v[94:95]
	v_fmac_f64_e32 v[68:69], s[14:15], v[100:101]
	;; [unrolled: 1-line block ×5, first 2 shown]
	v_mul_f64 v[64:65], v[70:71], s[6:7]
	v_fmac_f64_e32 v[64:65], s[12:13], v[18:19]
	v_mul_f64 v[82:83], v[18:19], s[14:15]
	v_mul_f64 v[18:19], v[16:17], s[12:13]
	v_fma_f64 v[80:81], v[68:69], s[6:7], -v[18:19]
	v_mul_f64 v[18:19], v[68:69], s[12:13]
	v_fma_f64 v[84:85], v[16:17], s[14:15], -v[18:19]
	v_add_f64 v[16:17], v[24:25], v[32:33]
	v_fma_f64 v[106:107], -0.5, v[16:17], v[4:5]
	v_add_f64 v[18:19], v[26:27], v[34:35]
	v_fma_f64 v[16:17], s[14:15], v[66:67], v[106:107]
	v_fma_f64 v[108:109], -0.5, v[18:19], v[6:7]
	v_fmac_f64_e32 v[16:17], s[16:17], v[76:77]
	v_fma_f64 v[18:19], s[6:7], v[94:95], v[108:109]
	s_mov_b32 s18, 0x9b97f4a8
	v_fmac_f64_e32 v[16:17], s[12:13], v[78:79]
	v_fmac_f64_e32 v[18:19], s[0:1], v[100:101]
	s_mov_b32 s19, 0x3fe9e377
	v_fmac_f64_e32 v[18:19], s[12:13], v[88:89]
	v_mul_f64 v[68:69], v[16:17], s[18:19]
	v_fma_f64 v[86:87], v[18:19], s[0:1], -v[68:69]
	v_mul_f64 v[18:19], v[18:19], s[18:19]
	v_fma_f64 v[92:93], v[16:17], s[16:17], -v[18:19]
	v_add_f64 v[16:17], v[20:21], v[28:29]
	v_fma_f64 v[104:105], -0.5, v[16:17], v[0:1]
	v_add_f64 v[16:17], v[22:23], v[30:31]
	v_fma_f64 v[110:111], -0.5, v[16:17], v[2:3]
	v_fma_f64 v[90:91], s[14:15], v[50:51], v[104:105]
	v_fma_f64 v[102:103], s[6:7], v[58:59], v[110:111]
	v_fmac_f64_e32 v[90:91], s[16:17], v[54:55]
	v_fmac_f64_e32 v[102:103], s[0:1], v[60:61]
	;; [unrolled: 1-line block ×5, first 2 shown]
	v_add_f64 v[68:69], v[44:45], -v[64:65]
	v_add_f64 v[70:71], v[48:49], -v[82:83]
	v_add_f64 v[72:73], v[46:47], -v[80:81]
	v_add_f64 v[74:75], v[52:53], -v[84:85]
	v_add_f64 v[16:17], v[90:91], -v[86:87]
	v_add_f64 v[18:19], v[102:103], -v[92:93]
	s_waitcnt lgkmcnt(0)
	; wave barrier
	s_and_saveexec_b64 s[14:15], vcc
	s_cbranch_execz .LBB0_7
; %bb.6:
	v_mul_f64 v[112:113], v[56:57], s[12:13]
	v_mul_f64 v[56:57], v[58:59], s[6:7]
	;; [unrolled: 1-line block ×3, first 2 shown]
	v_add_f64 v[56:57], v[110:111], -v[56:57]
	v_add_f64 v[0:1], v[0:1], v[8:9]
	v_mul_f64 v[60:61], v[62:63], s[12:13]
	v_mul_f64 v[62:63], v[66:67], s[6:7]
	;; [unrolled: 1-line block ×5, first 2 shown]
	v_add_f64 v[56:57], v[56:57], -v[58:59]
	v_add_f64 v[2:3], v[2:3], v[10:11]
	v_add_f64 v[0:1], v[0:1], v[20:21]
	v_mul_f64 v[94:95], v[100:101], s[0:1]
	v_add_f64 v[58:59], v[60:61], v[56:57]
	v_add_f64 v[56:57], v[108:109], -v[78:79]
	v_add_f64 v[2:3], v[2:3], v[22:23]
	v_add_f64 v[0:1], v[0:1], v[28:29]
	v_mul_f64 v[88:89], v[88:89], s[12:13]
	v_add_f64 v[56:57], v[56:57], -v[94:95]
	v_add_f64 v[2:3], v[2:3], v[30:31]
	v_add_f64 v[28:29], v[0:1], v[36:37]
	;; [unrolled: 1-line block ×8, first 2 shown]
	v_mul_f64 v[50:51], v[50:51], s[6:7]
	v_add_f64 v[56:57], v[66:67], v[56:57]
	v_add_f64 v[2:3], v[2:3], v[26:27]
	;; [unrolled: 1-line block ×3, first 2 shown]
	v_mul_f64 v[54:55], v[54:55], s[0:1]
	v_add_f64 v[62:63], v[76:77], v[56:57]
	v_add_f64 v[2:3], v[2:3], v[34:35]
	;; [unrolled: 1-line block ×4, first 2 shown]
	v_mul_f64 v[56:57], v[62:63], s[0:1]
	v_add_f64 v[26:27], v[2:3], v[42:43]
	v_add_f64 v[6:7], v[54:55], v[6:7]
	v_mul_f64 v[38:39], v[62:63], s[18:19]
	v_add_f64 v[0:1], v[28:29], -v[24:25]
	v_add_f64 v[24:25], v[28:29], v[24:25]
	v_mul_lo_u16_e32 v28, 10, v96
	v_fma_f64 v[66:67], v[60:61], s[18:19], -v[56:57]
	v_add_f64 v[2:3], v[30:31], -v[26:27]
	v_add_f64 v[34:35], v[112:113], v[6:7]
	v_fmac_f64_e32 v[38:39], s[0:1], v[60:61]
	v_add_f64 v[26:27], v[30:31], v[26:27]
	v_add_lshl_u32 v28, v132, v28, 4
	v_add_f64 v[56:57], v[58:59], -v[66:67]
	v_add_f64 v[54:55], v[34:35], -v[38:39]
	v_add_f64 v[6:7], v[102:103], v[92:93]
	v_add_f64 v[10:11], v[52:53], v[84:85]
	;; [unrolled: 1-line block ×8, first 2 shown]
	ds_write_b128 v28, v[24:27]
	ds_write_b128 v28, v[20:23] offset:16
	ds_write_b128 v28, v[12:15] offset:32
	;; [unrolled: 1-line block ×9, first 2 shown]
.LBB0_7:
	s_or_b64 exec, exec, s[14:15]
	s_movk_i32 s0, 0xcd
	v_mul_lo_u16_sdwa v0, v96, s0 dst_sel:DWORD dst_unused:UNUSED_PAD src0_sel:BYTE_0 src1_sel:DWORD
	v_lshrrev_b16_e32 v88, 11, v0
	v_mul_lo_u16_e32 v0, 10, v88
	v_sub_u16_e32 v89, v96, v0
	v_mov_b32_e32 v0, 6
	v_mul_u32_u24_sdwa v0, v89, v0 dst_sel:DWORD dst_unused:UNUSED_PAD src0_sel:BYTE_0 src1_sel:DWORD
	v_lshlrev_b32_e32 v28, 4, v0
	s_load_dwordx4 s[4:7], s[4:5], 0x0
	s_waitcnt lgkmcnt(0)
	; wave barrier
	s_waitcnt lgkmcnt(0)
	global_load_dwordx4 v[12:15], v28, s[10:11]
	global_load_dwordx4 v[8:11], v28, s[10:11] offset:16
	global_load_dwordx4 v[4:7], v28, s[10:11] offset:32
	;; [unrolled: 1-line block ×5, first 2 shown]
	v_add_lshl_u32 v134, v132, v96, 4
	ds_read_b128 v[28:31], v134
	ds_read_b128 v[32:35], v134 offset:480
	ds_read_b128 v[36:39], v134 offset:960
	;; [unrolled: 1-line block ×6, first 2 shown]
	s_mov_b32 s14, 0xe976ee23
	s_mov_b32 s15, 0xbfe11646
	;; [unrolled: 1-line block ×6, first 2 shown]
	s_waitcnt lgkmcnt(0)
	; wave barrier
	s_waitcnt vmcnt(5) lgkmcnt(0)
	v_mul_f64 v[56:57], v[34:35], v[14:15]
	v_mul_f64 v[58:59], v[32:33], v[14:15]
	s_waitcnt vmcnt(4)
	v_mul_f64 v[60:61], v[38:39], v[10:11]
	s_waitcnt vmcnt(3)
	v_mul_f64 v[64:65], v[42:43], v[6:7]
	v_mul_f64 v[66:67], v[40:41], v[6:7]
	s_waitcnt vmcnt(1)
	v_mul_f64 v[80:81], v[50:51], v[26:27]
	s_waitcnt vmcnt(0)
	v_mul_f64 v[84:85], v[54:55], v[22:23]
	v_mul_f64 v[62:63], v[36:37], v[10:11]
	;; [unrolled: 1-line block ×6, first 2 shown]
	v_fma_f64 v[32:33], v[32:33], v[12:13], -v[56:57]
	v_fmac_f64_e32 v[58:59], v[34:35], v[12:13]
	v_fma_f64 v[34:35], v[36:37], v[8:9], -v[60:61]
	v_fma_f64 v[36:37], v[40:41], v[4:5], -v[64:65]
	v_fmac_f64_e32 v[66:67], v[42:43], v[4:5]
	v_fma_f64 v[40:41], v[48:49], v[24:25], -v[80:81]
	;; [unrolled: 3-line block ×3, first 2 shown]
	v_fmac_f64_e32 v[78:79], v[46:47], v[0:1]
	v_fmac_f64_e32 v[82:83], v[50:51], v[24:25]
	;; [unrolled: 1-line block ×3, first 2 shown]
	v_add_f64 v[44:45], v[32:33], v[42:43]
	v_add_f64 v[48:49], v[34:35], v[40:41]
	;; [unrolled: 1-line block ×4, first 2 shown]
	v_add_f64 v[34:35], v[34:35], -v[40:41]
	v_add_f64 v[40:41], v[62:63], -v[82:83]
	v_add_f64 v[52:53], v[36:37], v[38:39]
	v_add_f64 v[36:37], v[38:39], -v[36:37]
	v_add_f64 v[38:39], v[78:79], -v[66:67]
	v_add_f64 v[56:57], v[48:49], v[44:45]
	;; [unrolled: 3-line block ×3, first 2 shown]
	v_add_f64 v[58:59], v[50:51], v[46:47]
	v_add_f64 v[60:61], v[48:49], -v[44:45]
	v_add_f64 v[44:45], v[44:45], -v[52:53]
	;; [unrolled: 1-line block ×3, first 2 shown]
	v_add_f64 v[64:65], v[36:37], v[34:35]
	v_add_f64 v[66:67], v[38:39], v[40:41]
	v_add_f64 v[76:77], v[36:37], -v[34:35]
	v_add_f64 v[78:79], v[38:39], -v[40:41]
	v_add_f64 v[52:53], v[52:53], v[56:57]
	v_add_f64 v[62:63], v[50:51], -v[46:47]
	v_add_f64 v[46:47], v[46:47], -v[54:55]
	;; [unrolled: 1-line block ×7, first 2 shown]
	v_add_f64 v[54:55], v[54:55], v[58:59]
	v_add_f64 v[32:33], v[64:65], v[32:33]
	;; [unrolled: 1-line block ×4, first 2 shown]
	v_mul_f64 v[64:65], v[76:77], s[14:15]
	v_mul_f64 v[66:67], v[78:79], s[14:15]
	s_mov_b32 s14, 0xaaaaaaaa
	v_add_f64 v[30:31], v[30:31], v[54:55]
	s_mov_b32 s15, 0xbff2aaaa
	v_mov_b64_e32 v[80:81], v[28:29]
	v_fmac_f64_e32 v[80:81], s[14:15], v[52:53]
	v_mov_b64_e32 v[52:53], v[30:31]
	v_mul_f64 v[56:57], v[48:49], s[0:1]
	v_mul_f64 v[58:59], v[50:51], s[0:1]
	v_fmac_f64_e32 v[52:53], s[14:15], v[54:55]
	s_mov_b32 s15, 0x3fe77f67
	s_mov_b32 s14, 0x5476071b
	v_mul_f64 v[44:45], v[44:45], s[12:13]
	v_mul_f64 v[46:47], v[46:47], s[12:13]
	s_mov_b32 s12, 0x429ad128
	v_fma_f64 v[54:55], v[60:61], s[14:15], -v[56:57]
	v_fma_f64 v[56:57], v[62:63], s[14:15], -v[58:59]
	s_mov_b32 s15, 0xbfe77f67
	s_mov_b32 s13, 0x3febfeb5
	v_fma_f64 v[48:49], s[0:1], v[48:49], v[44:45]
	v_fma_f64 v[58:59], v[62:63], s[14:15], -v[46:47]
	v_fmac_f64_e32 v[46:47], s[0:1], v[50:51]
	s_mov_b32 s1, 0x3fd5d0dc
	s_mov_b32 s0, 0xb247c609
	v_mul_f64 v[76:77], v[34:35], s[12:13]
	v_mul_f64 v[78:79], v[40:41], s[12:13]
	v_fma_f64 v[44:45], v[60:61], s[14:15], -v[44:45]
	v_fma_f64 v[60:61], s[0:1], v[36:37], v[64:65]
	v_fma_f64 v[62:63], v[40:41], s[12:13], -v[66:67]
	v_fmac_f64_e32 v[66:67], s[0:1], v[38:39]
	s_mov_b32 s1, 0xbfd5d0dc
	v_fma_f64 v[50:51], v[34:35], s[12:13], -v[64:65]
	v_fma_f64 v[64:65], v[36:37], s[0:1], -v[76:77]
	;; [unrolled: 1-line block ×3, first 2 shown]
	s_mov_b32 s0, 0x37c3f68c
	s_mov_b32 s1, 0x3fdc38aa
	v_add_f64 v[78:79], v[48:49], v[80:81]
	v_add_f64 v[82:83], v[46:47], v[52:53]
	v_add_f64 v[46:47], v[54:55], v[80:81]
	v_add_f64 v[48:49], v[56:57], v[52:53]
	v_add_f64 v[52:53], v[58:59], v[52:53]
	v_fmac_f64_e32 v[50:51], s[0:1], v[32:33]
	v_fmac_f64_e32 v[62:63], s[0:1], v[42:43]
	;; [unrolled: 1-line block ×3, first 2 shown]
	v_add_f64 v[54:55], v[44:45], v[80:81]
	v_fmac_f64_e32 v[66:67], s[0:1], v[42:43]
	v_fmac_f64_e32 v[76:77], s[0:1], v[42:43]
	v_add_f64 v[38:39], v[52:53], -v[64:65]
	v_add_f64 v[40:41], v[46:47], -v[62:63]
	v_add_f64 v[42:43], v[50:51], v[48:49]
	v_add_f64 v[44:45], v[62:63], v[46:47]
	v_add_f64 v[46:47], v[48:49], -v[50:51]
	v_add_f64 v[50:51], v[64:65], v[52:53]
	v_mul_lo_u16_e32 v52, 0x46, v88
	v_and_b32_e32 v52, 0xfe, v52
	v_add_u32_sdwa v52, v52, v89 dst_sel:DWORD dst_unused:UNUSED_PAD src0_sel:DWORD src1_sel:BYTE_0
	v_fmac_f64_e32 v[60:61], s[0:1], v[32:33]
	v_add_lshl_u32 v135, v132, v52, 4
	v_add_f64 v[32:33], v[66:67], v[78:79]
	v_add_f64 v[34:35], v[82:83], -v[60:61]
	v_add_f64 v[36:37], v[76:77], v[54:55]
	v_add_f64 v[48:49], v[54:55], -v[76:77]
	v_add_f64 v[56:57], v[78:79], -v[66:67]
	v_add_f64 v[58:59], v[60:61], v[82:83]
	ds_write_b128 v135, v[28:31]
	ds_write_b128 v135, v[32:35] offset:160
	ds_write_b128 v135, v[36:39] offset:320
	;; [unrolled: 1-line block ×6, first 2 shown]
	s_waitcnt lgkmcnt(0)
	; wave barrier
	s_waitcnt lgkmcnt(0)
	ds_read_b128 v[52:55], v134
	ds_read_b128 v[60:63], v134 offset:480
	ds_read_b128 v[80:83], v134 offset:1120
	;; [unrolled: 1-line block ×5, first 2 shown]
	v_cmp_gt_u16_e64 s[0:1], 10, v96
	s_and_saveexec_b64 s[12:13], s[0:1]
	s_cbranch_execz .LBB0_9
; %bb.8:
	ds_read_b128 v[56:59], v134 offset:960
	ds_read_b128 v[68:71], v134 offset:2080
	;; [unrolled: 1-line block ×3, first 2 shown]
.LBB0_9:
	s_or_b64 exec, exec, s[12:13]
	v_lshlrev_b32_e32 v28, 5, v96
	global_load_dwordx4 v[40:43], v28, s[10:11] offset:960
	global_load_dwordx4 v[36:39], v28, s[10:11] offset:976
	v_add_u32_e32 v28, 0x3c0, v28
	global_load_dwordx4 v[48:51], v28, s[10:11] offset:960
	global_load_dwordx4 v[44:47], v28, s[10:11] offset:976
	v_lshl_add_u64 v[28:29], v[96:97], 0, 60
	v_lshl_add_u64 v[30:31], v[96:97], 0, -10
	v_cndmask_b32_e64 v29, v31, v29, s[0:1]
	v_cndmask_b32_e64 v28, v30, v28, s[0:1]
	v_lshlrev_b64 v[28:29], 5, v[28:29]
	v_lshl_add_u64 v[88:89], s[10:11], 0, v[28:29]
	global_load_dwordx4 v[32:35], v[88:89], off offset:960
	global_load_dwordx4 v[28:31], v[88:89], off offset:976
	s_mov_b32 s10, 0xe8584caa
	s_mov_b32 s11, 0x3febb67a
	;; [unrolled: 1-line block ×4, first 2 shown]
	v_lshl_add_u32 v97, v96, 4, v133
	s_waitcnt vmcnt(5) lgkmcnt(3)
	v_mul_f64 v[88:89], v[82:83], v[42:43]
	v_mul_f64 v[90:91], v[80:81], v[42:43]
	s_waitcnt vmcnt(4) lgkmcnt(1)
	v_mul_f64 v[92:93], v[86:87], v[38:39]
	v_mul_f64 v[94:95], v[84:85], v[38:39]
	v_fma_f64 v[80:81], v[80:81], v[40:41], -v[88:89]
	v_fmac_f64_e32 v[90:91], v[82:83], v[40:41]
	v_fma_f64 v[82:83], v[84:85], v[36:37], -v[92:93]
	v_fmac_f64_e32 v[94:95], v[86:87], v[36:37]
	s_waitcnt vmcnt(3)
	v_mul_f64 v[84:85], v[66:67], v[50:51]
	v_mul_f64 v[86:87], v[64:65], v[50:51]
	s_waitcnt vmcnt(2) lgkmcnt(0)
	v_mul_f64 v[88:89], v[78:79], v[46:47]
	v_mul_f64 v[92:93], v[76:77], v[46:47]
	v_fma_f64 v[84:85], v[64:65], v[48:49], -v[84:85]
	v_fmac_f64_e32 v[86:87], v[66:67], v[48:49]
	v_fma_f64 v[76:77], v[76:77], v[44:45], -v[88:89]
	v_fmac_f64_e32 v[92:93], v[78:79], v[44:45]
	v_add_f64 v[64:65], v[52:53], v[80:81]
	v_add_f64 v[66:67], v[80:81], v[82:83]
	v_add_f64 v[78:79], v[90:91], -v[94:95]
	v_add_f64 v[88:89], v[54:55], v[90:91]
	v_add_f64 v[90:91], v[90:91], v[94:95]
	s_waitcnt vmcnt(1)
	v_mul_f64 v[100:101], v[70:71], v[34:35]
	v_mul_f64 v[102:103], v[68:69], v[34:35]
	s_waitcnt vmcnt(0)
	v_mul_f64 v[104:105], v[74:75], v[30:31]
	v_mul_f64 v[106:107], v[72:73], v[30:31]
	v_add_f64 v[80:81], v[80:81], -v[82:83]
	v_add_f64 v[64:65], v[64:65], v[82:83]
	v_fmac_f64_e32 v[52:53], -0.5, v[66:67]
	v_add_f64 v[66:67], v[88:89], v[94:95]
	v_fmac_f64_e32 v[54:55], -0.5, v[90:91]
	v_add_f64 v[82:83], v[60:61], v[84:85]
	v_add_f64 v[88:89], v[84:85], v[76:77]
	v_add_f64 v[90:91], v[86:87], -v[92:93]
	v_add_f64 v[94:95], v[62:63], v[86:87]
	v_add_f64 v[86:87], v[86:87], v[92:93]
	v_fma_f64 v[100:101], v[68:69], v[32:33], -v[100:101]
	v_fmac_f64_e32 v[102:103], v[70:71], v[32:33]
	v_fma_f64 v[104:105], v[72:73], v[28:29], -v[104:105]
	v_fmac_f64_e32 v[106:107], v[74:75], v[28:29]
	v_add_f64 v[84:85], v[84:85], -v[76:77]
	v_add_f64 v[72:73], v[82:83], v[76:77]
	v_fmac_f64_e32 v[60:61], -0.5, v[88:89]
	v_fmac_f64_e32 v[62:63], -0.5, v[86:87]
	v_add_f64 v[82:83], v[100:101], v[104:105]
	v_add_f64 v[88:89], v[102:103], v[106:107]
	v_fma_f64 v[68:69], s[10:11], v[78:79], v[52:53]
	v_fmac_f64_e32 v[52:53], s[12:13], v[78:79]
	v_fma_f64 v[70:71], s[12:13], v[80:81], v[54:55]
	v_fmac_f64_e32 v[54:55], s[10:11], v[80:81]
	;; [unrolled: 2-line block ×4, first 2 shown]
	v_add_f64 v[80:81], v[56:57], v[100:101]
	v_add_f64 v[86:87], v[102:103], -v[106:107]
	v_add_f64 v[84:85], v[58:59], v[102:103]
	v_add_f64 v[90:91], v[100:101], -v[104:105]
	v_fmac_f64_e32 v[56:57], -0.5, v[82:83]
	v_fmac_f64_e32 v[58:59], -0.5, v[88:89]
	v_add_f64 v[74:75], v[94:95], v[92:93]
	v_add_f64 v[80:81], v[80:81], v[104:105]
	;; [unrolled: 1-line block ×3, first 2 shown]
	v_fma_f64 v[84:85], s[10:11], v[86:87], v[56:57]
	v_fmac_f64_e32 v[56:57], s[12:13], v[86:87]
	v_fma_f64 v[86:87], s[12:13], v[90:91], v[58:59]
	v_fmac_f64_e32 v[58:59], s[10:11], v[90:91]
	ds_write_b128 v97, v[64:67]
	ds_write_b128 v97, v[68:71] offset:1120
	ds_write_b128 v97, v[52:55] offset:2240
	;; [unrolled: 1-line block ×5, first 2 shown]
	s_and_saveexec_b64 s[10:11], s[0:1]
	s_cbranch_execz .LBB0_11
; %bb.10:
	ds_write_b128 v97, v[80:83] offset:960
	ds_write_b128 v97, v[84:87] offset:2080
	;; [unrolled: 1-line block ×3, first 2 shown]
.LBB0_11:
	s_or_b64 exec, exec, s[10:11]
	s_waitcnt lgkmcnt(0)
	; wave barrier
	s_waitcnt lgkmcnt(0)
	s_and_saveexec_b64 s[10:11], vcc
	s_cbranch_execz .LBB0_13
; %bb.12:
	global_load_dwordx4 v[92:95], v99, s[2:3] offset:3360
	ds_read_b128 v[88:91], v97
	s_add_u32 s12, s2, 0xd20
	s_addc_u32 s13, s3, 0
	s_waitcnt vmcnt(0) lgkmcnt(0)
	v_mul_f64 v[100:101], v[90:91], v[94:95]
	v_mul_f64 v[102:103], v[88:89], v[94:95]
	v_fma_f64 v[100:101], v[88:89], v[92:93], -v[100:101]
	v_fmac_f64_e32 v[102:103], v[90:91], v[92:93]
	global_load_dwordx4 v[92:95], v99, s[12:13] offset:336
	ds_read_b128 v[88:91], v97 offset:336
	ds_write_b128 v97, v[100:103]
	s_waitcnt vmcnt(0) lgkmcnt(1)
	v_mul_f64 v[100:101], v[90:91], v[94:95]
	v_mul_f64 v[102:103], v[88:89], v[94:95]
	v_fma_f64 v[100:101], v[88:89], v[92:93], -v[100:101]
	v_fmac_f64_e32 v[102:103], v[90:91], v[92:93]
	global_load_dwordx4 v[92:95], v99, s[12:13] offset:672
	ds_read_b128 v[88:91], v97 offset:672
	ds_write_b128 v97, v[100:103] offset:336
	s_waitcnt vmcnt(0) lgkmcnt(1)
	v_mul_f64 v[100:101], v[90:91], v[94:95]
	v_mul_f64 v[102:103], v[88:89], v[94:95]
	v_fma_f64 v[100:101], v[88:89], v[92:93], -v[100:101]
	v_fmac_f64_e32 v[102:103], v[90:91], v[92:93]
	global_load_dwordx4 v[92:95], v99, s[12:13] offset:1008
	ds_read_b128 v[88:91], v97 offset:1008
	ds_write_b128 v97, v[100:103] offset:672
	;; [unrolled: 8-line block ×8, first 2 shown]
	s_waitcnt vmcnt(0) lgkmcnt(1)
	v_mul_f64 v[100:101], v[90:91], v[94:95]
	v_mul_f64 v[102:103], v[88:89], v[94:95]
	v_fma_f64 v[100:101], v[88:89], v[92:93], -v[100:101]
	v_fmac_f64_e32 v[102:103], v[90:91], v[92:93]
	ds_write_b128 v97, v[100:103] offset:3024
.LBB0_13:
	s_or_b64 exec, exec, s[10:11]
	s_waitcnt lgkmcnt(0)
	; wave barrier
	s_waitcnt lgkmcnt(0)
	s_and_saveexec_b64 s[10:11], vcc
	s_cbranch_execz .LBB0_15
; %bb.14:
	ds_read_b128 v[64:67], v97
	ds_read_b128 v[68:71], v97 offset:336
	ds_read_b128 v[52:55], v97 offset:672
	;; [unrolled: 1-line block ×9, first 2 shown]
.LBB0_15:
	s_or_b64 exec, exec, s[10:11]
	s_waitcnt lgkmcnt(1)
	v_add_f64 v[88:89], v[52:53], v[56:57]
	s_mov_b32 s14, 0x134454ff
	v_add_f64 v[104:105], v[78:79], -v[82:83]
	v_fma_f64 v[100:101], -0.5, v[88:89], v[64:65]
	s_mov_b32 s15, 0x3fee6f0e
	s_mov_b32 s12, 0x4755a5e
	;; [unrolled: 1-line block ×4, first 2 shown]
	v_add_f64 v[106:107], v[54:55], -v[58:59]
	v_fma_f64 v[102:103], s[14:15], v[104:105], v[100:101]
	s_mov_b32 s13, 0xbfe2cf23
	v_add_f64 v[88:89], v[76:77], -v[52:53]
	v_add_f64 v[90:91], v[80:81], -v[56:57]
	s_mov_b32 s16, 0x372fe950
	v_fmac_f64_e32 v[100:101], s[18:19], v[104:105]
	s_mov_b32 s21, 0x3fe2cf23
	s_mov_b32 s20, s12
	v_fmac_f64_e32 v[102:103], s[12:13], v[106:107]
	v_add_f64 v[88:89], v[88:89], v[90:91]
	s_mov_b32 s17, 0x3fd3c6ef
	v_fmac_f64_e32 v[100:101], s[20:21], v[106:107]
	v_fmac_f64_e32 v[102:103], s[16:17], v[88:89]
	;; [unrolled: 1-line block ×3, first 2 shown]
	v_add_f64 v[88:89], v[54:55], v[58:59]
	v_add_f64 v[120:121], v[76:77], -v[80:81]
	v_fma_f64 v[110:111], -0.5, v[88:89], v[66:67]
	v_add_f64 v[122:123], v[52:53], -v[56:57]
	v_fma_f64 v[108:109], s[18:19], v[120:121], v[110:111]
	v_add_f64 v[88:89], v[78:79], -v[54:55]
	v_add_f64 v[90:91], v[82:83], -v[58:59]
	v_fmac_f64_e32 v[110:111], s[14:15], v[120:121]
	v_fmac_f64_e32 v[108:109], s[20:21], v[122:123]
	v_add_f64 v[88:89], v[88:89], v[90:91]
	v_fmac_f64_e32 v[110:111], s[12:13], v[122:123]
	v_fmac_f64_e32 v[108:109], s[16:17], v[88:89]
	;; [unrolled: 1-line block ×3, first 2 shown]
	s_waitcnt lgkmcnt(0)
	v_add_f64 v[88:89], v[72:73], v[16:17]
	v_add_f64 v[124:125], v[62:63], -v[86:87]
	v_fma_f64 v[88:89], -0.5, v[88:89], v[68:69]
	v_add_f64 v[126:127], v[74:75], -v[18:19]
	v_fma_f64 v[90:91], s[14:15], v[124:125], v[88:89]
	v_add_f64 v[92:93], v[60:61], -v[72:73]
	v_add_f64 v[94:95], v[84:85], -v[16:17]
	v_fmac_f64_e32 v[88:89], s[18:19], v[124:125]
	v_fmac_f64_e32 v[90:91], s[12:13], v[126:127]
	v_add_f64 v[92:93], v[92:93], v[94:95]
	v_fmac_f64_e32 v[88:89], s[20:21], v[126:127]
	v_fmac_f64_e32 v[90:91], s[16:17], v[92:93]
	;; [unrolled: 1-line block ×3, first 2 shown]
	v_add_f64 v[92:93], v[74:75], v[18:19]
	v_add_f64 v[128:129], v[60:61], -v[84:85]
	v_fma_f64 v[92:93], -0.5, v[92:93], v[70:71]
	v_add_f64 v[130:131], v[72:73], -v[16:17]
	v_fma_f64 v[94:95], s[18:19], v[128:129], v[92:93]
	v_add_f64 v[112:113], v[62:63], -v[74:75]
	v_add_f64 v[114:115], v[86:87], -v[18:19]
	v_fmac_f64_e32 v[92:93], s[14:15], v[128:129]
	v_fmac_f64_e32 v[94:95], s[20:21], v[130:131]
	v_add_f64 v[112:113], v[112:113], v[114:115]
	v_fmac_f64_e32 v[92:93], s[12:13], v[130:131]
	v_fmac_f64_e32 v[94:95], s[16:17], v[112:113]
	;; [unrolled: 1-line block ×3, first 2 shown]
	s_mov_b32 s11, 0xbfd3c6ef
	s_mov_b32 s10, s16
	v_mul_f64 v[112:113], v[94:95], s[18:19]
	v_mul_f64 v[114:115], v[92:93], s[18:19]
	v_mul_f64 v[116:117], v[94:95], s[16:17]
	v_mul_f64 v[118:119], v[92:93], s[10:11]
	v_fmac_f64_e32 v[112:113], s[16:17], v[90:91]
	v_fmac_f64_e32 v[114:115], s[10:11], v[88:89]
	;; [unrolled: 1-line block ×4, first 2 shown]
	v_add_f64 v[88:89], v[102:103], -v[112:113]
	v_add_f64 v[92:93], v[100:101], -v[114:115]
	v_add_f64 v[90:91], v[108:109], -v[116:117]
	v_add_f64 v[94:95], v[110:111], -v[118:119]
	s_waitcnt lgkmcnt(0)
	; wave barrier
	s_and_saveexec_b64 s[10:11], vcc
	s_cbranch_execz .LBB0_17
; %bb.16:
	v_add_f64 v[136:137], v[54:55], -v[78:79]
	v_add_f64 v[138:139], v[58:59], -v[82:83]
	v_add_f64 v[54:55], v[66:67], v[54:55]
	v_add_f64 v[136:137], v[136:137], v[138:139]
	v_add_f64 v[138:139], v[78:79], v[82:83]
	v_add_f64 v[54:55], v[54:55], v[78:79]
	v_fma_f64 v[140:141], -0.5, v[138:139], v[66:67]
	v_add_f64 v[138:139], v[72:73], -v[60:61]
	v_add_f64 v[144:145], v[16:17], -v[84:85]
	v_add_f64 v[54:55], v[54:55], v[82:83]
	v_add_f64 v[144:145], v[138:139], v[144:145]
	;; [unrolled: 1-line block ×5, first 2 shown]
	v_fma_f64 v[146:147], -0.5, v[138:139], v[68:69]
	v_add_f64 v[138:139], v[74:75], -v[62:63]
	v_add_f64 v[150:151], v[18:19], -v[86:87]
	v_add_f64 v[54:55], v[54:55], v[62:63]
	v_add_f64 v[150:151], v[138:139], v[150:151]
	v_add_f64 v[138:139], v[62:63], v[86:87]
	v_add_f64 v[54:55], v[54:55], v[86:87]
	v_fma_f64 v[152:153], -0.5, v[138:139], v[70:71]
	v_add_f64 v[70:71], v[54:55], v[18:19]
	v_add_f64 v[54:55], v[52:53], -v[76:77]
	v_add_f64 v[52:53], v[64:65], v[52:53]
	v_add_f64 v[52:53], v[52:53], v[76:77]
	v_add_f64 v[58:59], v[56:57], -v[80:81]
	v_add_f64 v[52:53], v[52:53], v[80:81]
	v_fma_f64 v[148:149], s[14:15], v[126:127], v[146:147]
	v_fma_f64 v[154:155], s[18:19], v[130:131], v[152:153]
	v_fmac_f64_e32 v[146:147], s[18:19], v[126:127]
	v_fmac_f64_e32 v[152:153], s[14:15], v[130:131]
	v_add_f64 v[54:55], v[54:55], v[58:59]
	v_add_f64 v[58:59], v[76:77], v[80:81]
	;; [unrolled: 1-line block ×4, first 2 shown]
	v_fmac_f64_e32 v[154:155], s[12:13], v[128:129]
	s_mov_b32 s22, 0x9b97f4a8
	v_fmac_f64_e32 v[146:147], s[12:13], v[124:125]
	v_fmac_f64_e32 v[152:153], s[20:21], v[128:129]
	v_fma_f64 v[74:75], -0.5, v[58:59], v[64:65]
	v_add_f64 v[52:53], v[52:53], v[60:61]
	v_fma_f64 v[142:143], s[18:19], v[122:123], v[140:141]
	v_fmac_f64_e32 v[148:149], s[20:21], v[124:125]
	v_fmac_f64_e32 v[154:155], s[16:17], v[150:151]
	s_mov_b32 s23, 0xbfe9e377
	v_fmac_f64_e32 v[140:141], s[14:15], v[122:123]
	v_fmac_f64_e32 v[146:147], s[16:17], v[144:145]
	;; [unrolled: 1-line block ×3, first 2 shown]
	v_fma_f64 v[82:83], s[14:15], v[106:107], v[74:75]
	v_fmac_f64_e32 v[74:75], s[18:19], v[106:107]
	v_add_f64 v[52:53], v[52:53], v[84:85]
	v_fmac_f64_e32 v[142:143], s[12:13], v[120:121]
	v_fmac_f64_e32 v[148:149], s[16:17], v[144:145]
	v_mul_f64 v[156:157], v[154:155], s[22:23]
	v_fmac_f64_e32 v[140:141], s[20:21], v[120:121]
	v_mul_f64 v[124:125], v[146:147], s[20:21]
	s_mov_b32 s25, 0x3fe9e377
	s_mov_b32 s24, s22
	v_fmac_f64_e32 v[82:83], s[20:21], v[104:105]
	v_mul_f64 v[86:87], v[154:155], s[12:13]
	v_fmac_f64_e32 v[74:75], s[12:13], v[104:105]
	v_mul_f64 v[104:105], v[152:153], s[12:13]
	v_add_f64 v[68:69], v[52:53], v[16:17]
	v_mul_lo_u16_e32 v72, 10, v96
	v_fmac_f64_e32 v[142:143], s[16:17], v[136:137]
	v_fmac_f64_e32 v[156:157], s[20:21], v[148:149]
	v_fmac_f64_e32 v[140:141], s[16:17], v[136:137]
	v_fmac_f64_e32 v[124:125], s[24:25], v[152:153]
	v_add_f64 v[18:19], v[78:79], -v[70:71]
	v_fmac_f64_e32 v[82:83], s[16:17], v[54:55]
	v_fmac_f64_e32 v[86:87], s[22:23], v[148:149]
	;; [unrolled: 1-line block ×4, first 2 shown]
	v_add_f64 v[16:17], v[76:77], -v[68:69]
	v_add_f64 v[70:71], v[78:79], v[70:71]
	v_add_f64 v[68:69], v[76:77], v[68:69]
	v_lshl_add_u32 v72, v72, 4, v133
	v_add_f64 v[138:139], v[142:143], -v[156:157]
	v_add_f64 v[122:123], v[140:141], -v[124:125]
	;; [unrolled: 1-line block ×4, first 2 shown]
	v_add_f64 v[54:55], v[142:143], v[156:157]
	v_add_f64 v[58:59], v[110:111], v[118:119]
	;; [unrolled: 1-line block ×8, first 2 shown]
	ds_write_b128 v72, v[68:71]
	ds_write_b128 v72, v[64:67] offset:16
	ds_write_b128 v72, v[60:63] offset:32
	;; [unrolled: 1-line block ×9, first 2 shown]
.LBB0_17:
	s_or_b64 exec, exec, s[10:11]
	s_waitcnt lgkmcnt(0)
	; wave barrier
	s_waitcnt lgkmcnt(0)
	ds_read_b128 v[16:19], v134
	ds_read_b128 v[52:55], v134 offset:480
	ds_read_b128 v[56:59], v134 offset:960
	ds_read_b128 v[60:63], v134 offset:1440
	ds_read_b128 v[64:67], v134 offset:1920
	ds_read_b128 v[68:71], v134 offset:2400
	ds_read_b128 v[72:75], v134 offset:2880
	s_waitcnt lgkmcnt(5)
	v_mul_f64 v[76:77], v[14:15], v[54:55]
	v_mul_f64 v[14:15], v[14:15], v[52:53]
	v_fmac_f64_e32 v[76:77], v[12:13], v[52:53]
	v_fma_f64 v[12:13], v[12:13], v[54:55], -v[14:15]
	s_waitcnt lgkmcnt(4)
	v_mul_f64 v[14:15], v[10:11], v[58:59]
	v_mul_f64 v[10:11], v[10:11], v[56:57]
	v_fmac_f64_e32 v[14:15], v[8:9], v[56:57]
	v_fma_f64 v[8:9], v[8:9], v[58:59], -v[10:11]
	;; [unrolled: 5-line block ×6, first 2 shown]
	v_add_f64 v[22:23], v[76:77], v[26:27]
	v_add_f64 v[52:53], v[12:13], v[20:21]
	v_add_f64 v[12:13], v[12:13], -v[20:21]
	v_add_f64 v[20:21], v[14:15], v[2:3]
	v_add_f64 v[54:55], v[8:9], v[24:25]
	v_add_f64 v[2:3], v[14:15], -v[2:3]
	v_add_f64 v[8:9], v[8:9], -v[24:25]
	v_add_f64 v[14:15], v[10:11], v[6:7]
	v_add_f64 v[24:25], v[4:5], v[0:1]
	v_add_f64 v[0:1], v[0:1], -v[4:5]
	v_add_f64 v[4:5], v[20:21], v[22:23]
	v_add_f64 v[6:7], v[6:7], -v[10:11]
	;; [unrolled: 2-line block ×3, first 2 shown]
	v_add_f64 v[22:23], v[22:23], -v[14:15]
	v_add_f64 v[20:21], v[14:15], -v[20:21]
	v_add_f64 v[14:15], v[14:15], v[4:5]
	s_mov_b32 s10, 0x37e14327
	s_mov_b32 s12, 0xe976ee23
	v_add_f64 v[26:27], v[76:77], -v[26:27]
	v_add_f64 v[58:59], v[54:55], -v[52:53]
	;; [unrolled: 1-line block ×3, first 2 shown]
	v_add_f64 v[60:61], v[6:7], v[2:3]
	v_add_f64 v[66:67], v[0:1], -v[8:9]
	v_add_f64 v[10:11], v[24:25], v[10:11]
	v_add_f64 v[4:5], v[16:17], v[14:15]
	s_mov_b32 s11, 0x3fe948f6
	s_mov_b32 s13, 0x3fe11646
	;; [unrolled: 1-line block ×3, first 2 shown]
	v_add_f64 v[54:55], v[24:25], -v[54:55]
	v_add_f64 v[64:65], v[6:7], -v[2:3]
	;; [unrolled: 1-line block ×3, first 2 shown]
	v_add_f64 v[24:25], v[60:61], v[26:27]
	v_add_f64 v[6:7], v[18:19], v[10:11]
	v_mul_f64 v[16:17], v[22:23], s[10:11]
	v_mul_f64 v[18:19], v[52:53], s[10:11]
	s_mov_b32 s10, 0x36b3c0b5
	v_mul_f64 v[60:61], v[66:67], s[12:13]
	s_mov_b32 s15, 0xbff2aaaa
	v_mov_b64_e32 v[66:67], v[4:5]
	s_mov_b32 s11, 0x3fac98ee
	v_fmac_f64_e32 v[66:67], s[14:15], v[14:15]
	v_mov_b64_e32 v[14:15], v[6:7]
	v_add_f64 v[2:3], v[2:3], -v[26:27]
	v_mul_f64 v[22:23], v[20:21], s[10:11]
	v_mul_f64 v[26:27], v[54:55], s[10:11]
	v_fmac_f64_e32 v[14:15], s[14:15], v[10:11]
	s_mov_b32 s15, 0x3fe77f67
	s_mov_b32 s14, 0x5476071b
	v_mul_f64 v[52:53], v[64:65], s[12:13]
	s_mov_b32 s12, 0x429ad128
	v_fma_f64 v[10:11], s[10:11], v[20:21], v[16:17]
	v_fma_f64 v[20:21], v[56:57], s[14:15], -v[22:23]
	v_fma_f64 v[22:23], v[58:59], s[14:15], -v[26:27]
	s_mov_b32 s15, 0xbfe77f67
	v_add_f64 v[62:63], v[0:1], v[8:9]
	v_add_f64 v[0:1], v[12:13], -v[0:1]
	v_add_f64 v[8:9], v[8:9], -v[12:13]
	s_mov_b32 s13, 0xbfebfeb5
	v_fma_f64 v[26:27], v[58:59], s[14:15], -v[18:19]
	v_fmac_f64_e32 v[18:19], s[10:11], v[54:55]
	s_mov_b32 s11, 0xbfd5d0dc
	s_mov_b32 s10, 0xb247c609
	v_add_f64 v[12:13], v[62:63], v[12:13]
	v_mul_f64 v[62:63], v[2:3], s[12:13]
	v_mul_f64 v[64:65], v[8:9], s[12:13]
	v_fma_f64 v[54:55], s[10:11], v[68:69], v[52:53]
	v_fma_f64 v[2:3], v[2:3], s[12:13], -v[52:53]
	v_fma_f64 v[52:53], v[8:9], s[12:13], -v[60:61]
	v_fmac_f64_e32 v[60:61], s[10:11], v[0:1]
	s_mov_b32 s11, 0x3fd5d0dc
	v_fma_f64 v[16:17], v[56:57], s[14:15], -v[16:17]
	v_fma_f64 v[56:57], v[68:69], s[10:11], -v[62:63]
	;; [unrolled: 1-line block ×3, first 2 shown]
	s_mov_b32 s10, 0x37c3f68c
	s_mov_b32 s11, 0xbfdc38aa
	v_add_f64 v[58:59], v[10:11], v[66:67]
	v_add_f64 v[62:63], v[18:19], v[14:15]
	;; [unrolled: 1-line block ×6, first 2 shown]
	v_fmac_f64_e32 v[54:55], s[10:11], v[24:25]
	v_fmac_f64_e32 v[60:61], s[10:11], v[12:13]
	;; [unrolled: 1-line block ×6, first 2 shown]
	v_add_f64 v[8:9], v[60:61], v[58:59]
	v_add_f64 v[10:11], v[62:63], -v[54:55]
	v_add_f64 v[12:13], v[0:1], v[64:65]
	v_add_f64 v[14:15], v[26:27], -v[56:57]
	v_add_f64 v[16:17], v[20:21], -v[52:53]
	v_add_f64 v[18:19], v[2:3], v[22:23]
	v_add_f64 v[20:21], v[52:53], v[20:21]
	v_add_f64 v[22:23], v[22:23], -v[2:3]
	v_add_f64 v[24:25], v[64:65], -v[0:1]
	v_add_f64 v[26:27], v[56:57], v[26:27]
	v_add_f64 v[0:1], v[58:59], -v[60:61]
	v_add_f64 v[2:3], v[54:55], v[62:63]
	s_waitcnt lgkmcnt(0)
	; wave barrier
	ds_write_b128 v135, v[4:7]
	ds_write_b128 v135, v[8:11] offset:160
	ds_write_b128 v135, v[12:15] offset:320
	;; [unrolled: 1-line block ×6, first 2 shown]
	s_waitcnt lgkmcnt(0)
	; wave barrier
	s_waitcnt lgkmcnt(0)
	ds_read_b128 v[8:11], v134
	ds_read_b128 v[4:7], v134 offset:480
	ds_read_b128 v[24:27], v134 offset:1120
	;; [unrolled: 1-line block ×5, first 2 shown]
	s_and_saveexec_b64 s[10:11], s[0:1]
	s_cbranch_execz .LBB0_19
; %bb.18:
	ds_read_b128 v[0:3], v134 offset:960
	ds_read_b128 v[88:91], v134 offset:2080
	ds_read_b128 v[92:95], v134 offset:3200
.LBB0_19:
	s_or_b64 exec, exec, s[10:11]
	s_waitcnt lgkmcnt(3)
	v_mul_f64 v[52:53], v[42:43], v[26:27]
	v_fmac_f64_e32 v[52:53], v[40:41], v[24:25]
	v_mul_f64 v[24:25], v[42:43], v[24:25]
	v_fma_f64 v[24:25], v[40:41], v[26:27], -v[24:25]
	s_waitcnt lgkmcnt(1)
	v_mul_f64 v[26:27], v[38:39], v[22:23]
	s_waitcnt lgkmcnt(0)
	v_mul_f64 v[40:41], v[46:47], v[14:15]
	v_fmac_f64_e32 v[26:27], v[36:37], v[20:21]
	v_mul_f64 v[20:21], v[38:39], v[20:21]
	v_fmac_f64_e32 v[40:41], v[44:45], v[12:13]
	v_mul_f64 v[12:13], v[46:47], v[12:13]
	v_fma_f64 v[20:21], v[36:37], v[22:23], -v[20:21]
	v_mul_f64 v[36:37], v[50:51], v[18:19]
	v_fma_f64 v[42:43], v[44:45], v[14:15], -v[12:13]
	v_add_f64 v[14:15], v[52:53], v[26:27]
	s_mov_b32 s10, 0xe8584caa
	v_fmac_f64_e32 v[36:37], v[48:49], v[16:17]
	v_mul_f64 v[16:17], v[50:51], v[16:17]
	v_add_f64 v[12:13], v[8:9], v[52:53]
	v_fmac_f64_e32 v[8:9], -0.5, v[14:15]
	v_add_f64 v[14:15], v[24:25], -v[20:21]
	s_mov_b32 s11, 0xbfebb67a
	s_mov_b32 s13, 0x3febb67a
	;; [unrolled: 1-line block ×3, first 2 shown]
	v_fma_f64 v[38:39], v[48:49], v[18:19], -v[16:17]
	v_fma_f64 v[16:17], s[10:11], v[14:15], v[8:9]
	v_fmac_f64_e32 v[8:9], s[12:13], v[14:15]
	v_add_f64 v[14:15], v[10:11], v[24:25]
	v_add_f64 v[18:19], v[24:25], v[20:21]
	;; [unrolled: 1-line block ×3, first 2 shown]
	v_fmac_f64_e32 v[10:11], -0.5, v[18:19]
	v_add_f64 v[20:21], v[52:53], -v[26:27]
	v_add_f64 v[22:23], v[36:37], v[40:41]
	v_add_f64 v[12:13], v[12:13], v[26:27]
	v_fma_f64 v[18:19], s[12:13], v[20:21], v[10:11]
	v_fmac_f64_e32 v[10:11], s[10:11], v[20:21]
	v_add_f64 v[20:21], v[4:5], v[36:37]
	v_fmac_f64_e32 v[4:5], -0.5, v[22:23]
	v_add_f64 v[22:23], v[38:39], -v[42:43]
	v_add_f64 v[26:27], v[38:39], v[42:43]
	v_fma_f64 v[24:25], s[10:11], v[22:23], v[4:5]
	v_fmac_f64_e32 v[4:5], s[12:13], v[22:23]
	v_add_f64 v[22:23], v[6:7], v[38:39]
	v_fmac_f64_e32 v[6:7], -0.5, v[26:27]
	v_add_f64 v[36:37], v[36:37], -v[40:41]
	v_add_f64 v[20:21], v[20:21], v[40:41]
	v_add_f64 v[22:23], v[22:23], v[42:43]
	v_fma_f64 v[26:27], s[12:13], v[36:37], v[6:7]
	v_fmac_f64_e32 v[6:7], s[10:11], v[36:37]
	ds_write_b128 v97, v[12:15]
	ds_write_b128 v97, v[16:19] offset:1120
	ds_write_b128 v97, v[8:11] offset:2240
	;; [unrolled: 1-line block ×5, first 2 shown]
	s_and_saveexec_b64 s[14:15], s[0:1]
	s_cbranch_execz .LBB0_21
; %bb.20:
	v_mul_f64 v[4:5], v[34:35], v[88:89]
	v_fma_f64 v[6:7], v[32:33], v[90:91], -v[4:5]
	v_mul_f64 v[4:5], v[30:31], v[92:93]
	v_fma_f64 v[10:11], v[28:29], v[94:95], -v[4:5]
	v_mul_f64 v[14:15], v[34:35], v[90:91]
	v_mul_f64 v[16:17], v[30:31], v[94:95]
	v_add_f64 v[4:5], v[6:7], v[10:11]
	v_fmac_f64_e32 v[14:15], v[32:33], v[88:89]
	v_fmac_f64_e32 v[16:17], v[28:29], v[92:93]
	v_fma_f64 v[4:5], -0.5, v[4:5], v[2:3]
	v_add_f64 v[12:13], v[14:15], -v[16:17]
	v_add_f64 v[2:3], v[2:3], v[6:7]
	v_fma_f64 v[8:9], s[10:11], v[12:13], v[4:5]
	v_fmac_f64_e32 v[4:5], s[12:13], v[12:13]
	v_add_f64 v[12:13], v[2:3], v[10:11]
	v_add_f64 v[2:3], v[14:15], v[16:17]
	v_fma_f64 v[2:3], -0.5, v[2:3], v[0:1]
	v_add_f64 v[10:11], v[6:7], -v[10:11]
	v_add_f64 v[0:1], v[0:1], v[14:15]
	v_fma_f64 v[6:7], s[12:13], v[10:11], v[2:3]
	v_fmac_f64_e32 v[2:3], s[10:11], v[10:11]
	v_add_f64 v[10:11], v[0:1], v[16:17]
	v_lshl_add_u32 v0, v96, 4, v133
	ds_write_b128 v0, v[10:13] offset:960
	ds_write_b128 v0, v[2:5] offset:2080
	;; [unrolled: 1-line block ×3, first 2 shown]
.LBB0_21:
	s_or_b64 exec, exec, s[14:15]
	s_waitcnt lgkmcnt(0)
	; wave barrier
	s_waitcnt lgkmcnt(0)
	s_and_b64 exec, exec, vcc
	s_cbranch_execz .LBB0_23
; %bb.22:
	global_load_dwordx4 v[0:3], v99, s[2:3]
	global_load_dwordx4 v[4:7], v99, s[2:3] offset:336
	global_load_dwordx4 v[8:11], v99, s[2:3] offset:672
	global_load_dwordx4 v[12:15], v99, s[2:3] offset:1008
	global_load_dwordx4 v[16:19], v99, s[2:3] offset:1344
	global_load_dwordx4 v[20:23], v99, s[2:3] offset:1680
	global_load_dwordx4 v[24:27], v99, s[2:3] offset:2016
	global_load_dwordx4 v[28:31], v99, s[2:3] offset:2352
	global_load_dwordx4 v[32:35], v99, s[2:3] offset:2688
	global_load_dwordx4 v[36:39], v99, s[2:3] offset:3024
	v_mad_u64_u32 v[66:67], s[0:1], s6, v98, 0
	v_mov_b32_e32 v64, s8
	v_mov_b32_e32 v65, s9
	v_mad_u64_u32 v[68:69], s[8:9], s4, v96, 0
	v_mov_b32_e32 v70, v67
	v_mov_b32_e32 v72, v69
	v_mad_u64_u32 v[70:71], s[2:3], s7, v98, v[70:71]
	v_mad_u64_u32 v[72:73], s[2:3], s5, v96, v[72:73]
	v_mov_b32_e32 v67, v70
	v_mov_b32_e32 v69, v72
	v_lshl_add_u64 v[64:65], v[66:67], 4, v[64:65]
	v_mov_b32_e32 v85, 0x150
	v_lshl_add_u64 v[64:65], v[68:69], 4, v[64:65]
	s_mul_i32 s6, s5, 0x150
	v_mad_u64_u32 v[66:67], s[2:3], s4, v85, v[64:65]
	v_lshl_add_u32 v84, v132, 4, v99
	ds_read_b128 v[40:43], v97
	ds_read_b128 v[44:47], v84 offset:336
	ds_read_b128 v[48:51], v84 offset:672
	;; [unrolled: 1-line block ×5, first 2 shown]
	v_add_u32_e32 v67, s6, v67
	v_mad_u64_u32 v[68:69], s[2:3], s4, v85, v[66:67]
	v_add_u32_e32 v69, s6, v69
	s_mov_b32 s0, 0x13813814
	v_mad_u64_u32 v[70:71], s[2:3], s4, v85, v[68:69]
	s_mov_b32 s1, 0x3f738138
	v_add_u32_e32 v71, s6, v71
	v_mad_u64_u32 v[72:73], s[2:3], s4, v85, v[70:71]
	v_add_u32_e32 v73, s6, v73
	s_waitcnt vmcnt(9) lgkmcnt(5)
	v_mul_f64 v[74:75], v[42:43], v[2:3]
	v_mul_f64 v[2:3], v[40:41], v[2:3]
	s_waitcnt vmcnt(8) lgkmcnt(4)
	v_mul_f64 v[76:77], v[46:47], v[6:7]
	v_mul_f64 v[6:7], v[44:45], v[6:7]
	;; [unrolled: 3-line block ×5, first 2 shown]
	v_fmac_f64_e32 v[74:75], v[40:41], v[0:1]
	v_fma_f64 v[2:3], v[0:1], v[42:43], -v[2:3]
	v_fmac_f64_e32 v[76:77], v[44:45], v[4:5]
	v_fma_f64 v[6:7], v[4:5], v[46:47], -v[6:7]
	;; [unrolled: 2-line block ×5, first 2 shown]
	v_mul_f64 v[0:1], v[74:75], s[0:1]
	v_mul_f64 v[2:3], v[2:3], s[0:1]
	;; [unrolled: 1-line block ×10, first 2 shown]
	global_store_dwordx4 v[64:65], v[0:3], off
	global_store_dwordx4 v[66:67], v[4:7], off
	;; [unrolled: 1-line block ×5, first 2 shown]
	s_waitcnt vmcnt(9) lgkmcnt(0)
	v_mul_f64 v[0:1], v[62:63], v[22:23]
	v_mul_f64 v[2:3], v[60:61], v[22:23]
	ds_read_b128 v[4:7], v84 offset:2016
	v_fmac_f64_e32 v[0:1], v[60:61], v[20:21]
	v_fma_f64 v[2:3], v[20:21], v[62:63], -v[2:3]
	v_mad_u64_u32 v[12:13], s[2:3], s4, v85, v[72:73]
	v_mul_f64 v[0:1], v[0:1], s[0:1]
	v_mul_f64 v[2:3], v[2:3], s[0:1]
	v_add_u32_e32 v13, s6, v13
	global_store_dwordx4 v[12:13], v[0:3], off
	ds_read_b128 v[0:3], v84 offset:2352
	s_waitcnt vmcnt(9) lgkmcnt(1)
	v_mul_f64 v[8:9], v[6:7], v[26:27]
	v_fmac_f64_e32 v[8:9], v[4:5], v[24:25]
	v_mul_f64 v[4:5], v[4:5], v[26:27]
	v_fma_f64 v[4:5], v[24:25], v[6:7], -v[4:5]
	v_mul_f64 v[10:11], v[4:5], s[0:1]
	s_waitcnt vmcnt(8) lgkmcnt(0)
	v_mul_f64 v[4:5], v[2:3], v[30:31]
	v_fmac_f64_e32 v[4:5], v[0:1], v[28:29]
	v_mul_f64 v[0:1], v[0:1], v[30:31]
	v_mad_u64_u32 v[12:13], s[2:3], s4, v85, v[12:13]
	v_fma_f64 v[0:1], v[28:29], v[2:3], -v[0:1]
	v_mul_f64 v[8:9], v[8:9], s[0:1]
	v_add_u32_e32 v13, s6, v13
	v_mul_f64 v[6:7], v[0:1], s[0:1]
	ds_read_b128 v[0:3], v84 offset:2688
	global_store_dwordx4 v[12:13], v[8:11], off
	v_mad_u64_u32 v[12:13], s[2:3], s4, v85, v[12:13]
	v_mul_f64 v[4:5], v[4:5], s[0:1]
	v_add_u32_e32 v13, s6, v13
	global_store_dwordx4 v[12:13], v[4:7], off
	ds_read_b128 v[4:7], v84 offset:3024
	s_waitcnt vmcnt(9) lgkmcnt(1)
	v_mul_f64 v[8:9], v[2:3], v[34:35]
	v_fmac_f64_e32 v[8:9], v[0:1], v[32:33]
	v_mul_f64 v[0:1], v[0:1], v[34:35]
	v_fma_f64 v[0:1], v[32:33], v[2:3], -v[0:1]
	v_mul_f64 v[10:11], v[0:1], s[0:1]
	v_mad_u64_u32 v[12:13], s[2:3], s4, v85, v[12:13]
	s_waitcnt vmcnt(8) lgkmcnt(0)
	v_mul_f64 v[0:1], v[6:7], v[38:39]
	v_mul_f64 v[2:3], v[4:5], v[38:39]
	v_add_u32_e32 v13, s6, v13
	v_fmac_f64_e32 v[0:1], v[4:5], v[36:37]
	v_fma_f64 v[2:3], v[36:37], v[6:7], -v[2:3]
	v_mul_f64 v[8:9], v[8:9], s[0:1]
	v_mul_f64 v[0:1], v[0:1], s[0:1]
	v_mul_f64 v[2:3], v[2:3], s[0:1]
	v_mad_u64_u32 v[4:5], s[0:1], s4, v85, v[12:13]
	v_add_u32_e32 v5, s6, v5
	global_store_dwordx4 v[12:13], v[8:11], off
	global_store_dwordx4 v[4:5], v[0:3], off
.LBB0_23:
	s_endpgm
	.section	.rodata,"a",@progbits
	.p2align	6, 0x0
	.amdhsa_kernel bluestein_single_back_len210_dim1_dp_op_CI_CI
		.amdhsa_group_segment_fixed_size 6720
		.amdhsa_private_segment_fixed_size 0
		.amdhsa_kernarg_size 104
		.amdhsa_user_sgpr_count 2
		.amdhsa_user_sgpr_dispatch_ptr 0
		.amdhsa_user_sgpr_queue_ptr 0
		.amdhsa_user_sgpr_kernarg_segment_ptr 1
		.amdhsa_user_sgpr_dispatch_id 0
		.amdhsa_user_sgpr_kernarg_preload_length 0
		.amdhsa_user_sgpr_kernarg_preload_offset 0
		.amdhsa_user_sgpr_private_segment_size 0
		.amdhsa_uses_dynamic_stack 0
		.amdhsa_enable_private_segment 0
		.amdhsa_system_sgpr_workgroup_id_x 1
		.amdhsa_system_sgpr_workgroup_id_y 0
		.amdhsa_system_sgpr_workgroup_id_z 0
		.amdhsa_system_sgpr_workgroup_info 0
		.amdhsa_system_vgpr_workitem_id 0
		.amdhsa_next_free_vgpr 158
		.amdhsa_next_free_sgpr 26
		.amdhsa_accum_offset 160
		.amdhsa_reserve_vcc 1
		.amdhsa_float_round_mode_32 0
		.amdhsa_float_round_mode_16_64 0
		.amdhsa_float_denorm_mode_32 3
		.amdhsa_float_denorm_mode_16_64 3
		.amdhsa_dx10_clamp 1
		.amdhsa_ieee_mode 1
		.amdhsa_fp16_overflow 0
		.amdhsa_tg_split 0
		.amdhsa_exception_fp_ieee_invalid_op 0
		.amdhsa_exception_fp_denorm_src 0
		.amdhsa_exception_fp_ieee_div_zero 0
		.amdhsa_exception_fp_ieee_overflow 0
		.amdhsa_exception_fp_ieee_underflow 0
		.amdhsa_exception_fp_ieee_inexact 0
		.amdhsa_exception_int_div_zero 0
	.end_amdhsa_kernel
	.text
.Lfunc_end0:
	.size	bluestein_single_back_len210_dim1_dp_op_CI_CI, .Lfunc_end0-bluestein_single_back_len210_dim1_dp_op_CI_CI
                                        ; -- End function
	.section	.AMDGPU.csdata,"",@progbits
; Kernel info:
; codeLenInByte = 9032
; NumSgprs: 32
; NumVgprs: 158
; NumAgprs: 0
; TotalNumVgprs: 158
; ScratchSize: 0
; MemoryBound: 0
; FloatMode: 240
; IeeeMode: 1
; LDSByteSize: 6720 bytes/workgroup (compile time only)
; SGPRBlocks: 3
; VGPRBlocks: 19
; NumSGPRsForWavesPerEU: 32
; NumVGPRsForWavesPerEU: 158
; AccumOffset: 160
; Occupancy: 3
; WaveLimiterHint : 1
; COMPUTE_PGM_RSRC2:SCRATCH_EN: 0
; COMPUTE_PGM_RSRC2:USER_SGPR: 2
; COMPUTE_PGM_RSRC2:TRAP_HANDLER: 0
; COMPUTE_PGM_RSRC2:TGID_X_EN: 1
; COMPUTE_PGM_RSRC2:TGID_Y_EN: 0
; COMPUTE_PGM_RSRC2:TGID_Z_EN: 0
; COMPUTE_PGM_RSRC2:TIDIG_COMP_CNT: 0
; COMPUTE_PGM_RSRC3_GFX90A:ACCUM_OFFSET: 39
; COMPUTE_PGM_RSRC3_GFX90A:TG_SPLIT: 0
	.text
	.p2alignl 6, 3212836864
	.fill 256, 4, 3212836864
	.type	__hip_cuid_82abade2c2274d36,@object ; @__hip_cuid_82abade2c2274d36
	.section	.bss,"aw",@nobits
	.globl	__hip_cuid_82abade2c2274d36
__hip_cuid_82abade2c2274d36:
	.byte	0                               ; 0x0
	.size	__hip_cuid_82abade2c2274d36, 1

	.ident	"AMD clang version 19.0.0git (https://github.com/RadeonOpenCompute/llvm-project roc-6.4.0 25133 c7fe45cf4b819c5991fe208aaa96edf142730f1d)"
	.section	".note.GNU-stack","",@progbits
	.addrsig
	.addrsig_sym __hip_cuid_82abade2c2274d36
	.amdgpu_metadata
---
amdhsa.kernels:
  - .agpr_count:     0
    .args:
      - .actual_access:  read_only
        .address_space:  global
        .offset:         0
        .size:           8
        .value_kind:     global_buffer
      - .actual_access:  read_only
        .address_space:  global
        .offset:         8
        .size:           8
        .value_kind:     global_buffer
      - .actual_access:  read_only
        .address_space:  global
        .offset:         16
        .size:           8
        .value_kind:     global_buffer
      - .actual_access:  read_only
        .address_space:  global
        .offset:         24
        .size:           8
        .value_kind:     global_buffer
      - .actual_access:  read_only
        .address_space:  global
        .offset:         32
        .size:           8
        .value_kind:     global_buffer
      - .offset:         40
        .size:           8
        .value_kind:     by_value
      - .address_space:  global
        .offset:         48
        .size:           8
        .value_kind:     global_buffer
      - .address_space:  global
        .offset:         56
        .size:           8
        .value_kind:     global_buffer
      - .address_space:  global
        .offset:         64
        .size:           8
        .value_kind:     global_buffer
      - .address_space:  global
        .offset:         72
        .size:           8
        .value_kind:     global_buffer
      - .offset:         80
        .size:           4
        .value_kind:     by_value
      - .address_space:  global
        .offset:         88
        .size:           8
        .value_kind:     global_buffer
      - .address_space:  global
        .offset:         96
        .size:           8
        .value_kind:     global_buffer
    .group_segment_fixed_size: 6720
    .kernarg_segment_align: 8
    .kernarg_segment_size: 104
    .language:       OpenCL C
    .language_version:
      - 2
      - 0
    .max_flat_workgroup_size: 60
    .name:           bluestein_single_back_len210_dim1_dp_op_CI_CI
    .private_segment_fixed_size: 0
    .sgpr_count:     32
    .sgpr_spill_count: 0
    .symbol:         bluestein_single_back_len210_dim1_dp_op_CI_CI.kd
    .uniform_work_group_size: 1
    .uses_dynamic_stack: false
    .vgpr_count:     158
    .vgpr_spill_count: 0
    .wavefront_size: 64
amdhsa.target:   amdgcn-amd-amdhsa--gfx950
amdhsa.version:
  - 1
  - 2
...

	.end_amdgpu_metadata
